;; amdgpu-corpus repo=linkedin/Liger-Kernel kind=triton arch=gfx950 opt=O3 lang=triton
	.amdgcn_target "amdgcn-amd-amdhsa--gfx950"
	.amdhsa_code_object_version 5
	.text
	.globl	_sparsemax_forward_kernel       ; -- Begin function _sparsemax_forward_kernel
	.p2align	8
	.type	_sparsemax_forward_kernel,@function
_sparsemax_forward_kernel:              ; @_sparsemax_forward_kernel
.Lfunc_begin0:
	.cfi_sections .debug_frame
	.cfi_startproc
; %bb.15:
	.file	1 "/root/src/amdgpu-assembly/repos/linkedin__Liger-Kernel/triton_aot_kernels" "sparsemax_aot.py"
	.loc	1 8 0 prologue_end              ; sparsemax_aot.py:8:0
	s_load_dwordx2 s[2:3], s[0:1], 0x0
	s_load_dwordx8 s[4:11], s[0:1], 0x8
	s_load_dwordx4 s[12:15], s[0:1], 0x28
	s_waitcnt lgkmcnt(0)
	s_branch .LBB0_0
	.loc	1 0 0 is_stmt 0                 ; :0:0
.Ltmp0:
	.p2align	8
; %bb.16:
.LBB0_0:
.Ltmp1:
	.loc	1 21 53 is_stmt 1               ; sparsemax_aot.py:21:53
	s_mul_i32 s0, s8, s16
	.loc	1 21 43 is_stmt 0               ; sparsemax_aot.py:21:43
	s_ashr_i32 s1, s0, 31
	.loc	1 61 8 is_stmt 1                ; sparsemax_aot.py:61:8
	v_lshrrev_b32_e32 v10, 6, v0
	.loc	1 21 43                         ; sparsemax_aot.py:21:43
	s_lshl_b64 s[0:1], s[0:1], 2
.Ltmp2:
	.file	2 "/root/.local/lib/python3.13/site-packages/triton/language" "standard.py"
	.loc	2 293 36                        ; standard.py:293:36 @[ sparsemax_aot.py:46:55 ]
	v_readfirstlane_b32 s5, v10
.Ltmp3:
	.loc	1 21 43                         ; sparsemax_aot.py:21:43
	s_add_u32 s20, s6, s0
	s_addc_u32 s0, s7, s1
	.loc	1 24 24                         ; sparsemax_aot.py:24:24
	s_lshl_b32 s1, s5, 6
	v_and_b32_e32 v11, 63, v0
	s_and_b32 s1, s1, 0xc0
	v_or_b32_e32 v9, s1, v11
	v_or_b32_e32 v2, 0x100, v9
	;; [unrolled: 1-line block ×4, first 2 shown]
	.loc	1 28 8                          ; sparsemax_aot.py:28:8
	s_and_b32 s21, s0, 0xffff
	v_lshlrev_b32_e32 v1, 2, v9
	v_bfrev_b32_e32 v8, 1
	.loc	1 25 18                         ; sparsemax_aot.py:25:18
	v_cmp_gt_i32_e64 s[14:15], s13, v9
	.loc	1 28 8                          ; sparsemax_aot.py:28:8
	v_lshlrev_b32_e32 v5, 2, v2
	.loc	1 25 18                         ; sparsemax_aot.py:25:18
	v_cmp_gt_i32_e64 s[0:1], s13, v2
	.loc	1 28 8                          ; sparsemax_aot.py:28:8
	v_lshlrev_b32_e32 v12, 2, v4
	.loc	1 25 18                         ; sparsemax_aot.py:25:18
	v_cmp_gt_i32_e64 s[8:9], s13, v4
	s_mov_b32 s23, 0x27000
	s_mov_b32 s22, 0x7ffffffe
	.loc	1 28 8                          ; sparsemax_aot.py:28:8
	v_cndmask_b32_e64 v1, v8, v1, s[14:15]
	v_cndmask_b32_e64 v2, v8, v5, s[0:1]
	v_lshlrev_b32_e32 v5, 2, v3
	.loc	1 25 18                         ; sparsemax_aot.py:25:18
	v_cmp_gt_i32_e64 s[6:7], s13, v3
	.loc	1 28 8                          ; sparsemax_aot.py:28:8
	v_cndmask_b32_e64 v4, v8, v12, s[8:9]
.Ltmp4:
	.loc	2 343 60                        ; standard.py:343:60 @[ sparsemax_aot.py:35:30 ]
	v_lshlrev_b32_e32 v13, 2, v11
.Ltmp5:
	.loc	1 28 8                          ; sparsemax_aot.py:28:8
	v_cndmask_b32_e64 v3, v8, v5, s[6:7]
	buffer_load_dword v5, v1, s[20:23], 0 offen sc0 nt
	buffer_load_dword v6, v2, s[20:23], 0 offen sc0 nt
	;; [unrolled: 1-line block ×4, first 2 shown]
.Ltmp6:
	.loc	2 343 60                        ; standard.py:343:60 @[ sparsemax_aot.py:35:30 ]
	v_add_u32_e32 v14, -8, v13
	v_cmp_gt_u32_e32 vcc, 2, v11
	v_add_u32_e32 v15, -16, v13
	v_subrev_u32_e32 v16, 32, v13
	v_cndmask_b32_e32 v14, v14, v13, vcc
	v_cmp_gt_u32_e32 vcc, 4, v11
	v_subrev_u32_e32 v17, 64, v13
	v_sub_u32_e64 v12, v11, 1 clamp
	v_cndmask_b32_e32 v15, v15, v13, vcc
	v_cmp_gt_u32_e32 vcc, 8, v11
	v_add_u32_e32 v18, 0xffffff80, v13
	v_lshlrev_b32_e32 v12, 2, v12
	v_cndmask_b32_e32 v16, v16, v13, vcc
	v_cmp_gt_u32_e32 vcc, 16, v11
	v_cmp_eq_u32_e64 s[18:19], 0, v11
.Ltmp7:
	.loc	1 34 45                         ; sparsemax_aot.py:34:45
	s_waitcnt vmcnt(2)
	v_cndmask_b32_e64 v19, 0, v6, s[0:1]
.Ltmp8:
	.loc	2 343 60                        ; standard.py:343:60 @[ sparsemax_aot.py:35:30 ]
	v_cndmask_b32_e32 v17, v17, v13, vcc
	v_cmp_gt_u32_e32 vcc, 32, v11
.Ltmp9:
	.loc	1 34 45                         ; sparsemax_aot.py:34:45
	s_waitcnt vmcnt(1)
	v_cndmask_b32_e64 v20, 0, v7, s[6:7]
	s_waitcnt vmcnt(0)
	v_cndmask_b32_e64 v22, 0, v8, s[8:9]
.Ltmp10:
	.loc	2 343 60                        ; standard.py:343:60 @[ sparsemax_aot.py:35:30 ]
	v_cndmask_b32_e32 v18, v18, v13, vcc
.Ltmp11:
	.loc	1 34 45                         ; sparsemax_aot.py:34:45
	v_cndmask_b32_e64 v13, 0, v5, s[14:15]
.Ltmp12:
	.loc	2 343 60                        ; standard.py:343:60 @[ sparsemax_aot.py:35:30 ]
	ds_bpermute_b32 v21, v12, v13
	ds_bpermute_b32 v23, v12, v19
	;; [unrolled: 1-line block ×4, first 2 shown]
	v_cmp_lt_u32_e32 vcc, 1, v11
.Ltmp13:
	.loc	2 263 15                        ; standard.py:263:15 @[ standard.py:343:60 @[ sparsemax_aot.py:35:30 ] ]
	s_waitcnt lgkmcnt(3)
	v_add_f32_e32 v21, v13, v21
.Ltmp14:
	.loc	2 343 60                        ; standard.py:343:60 @[ sparsemax_aot.py:35:30 ]
	v_cndmask_b32_e64 v13, v21, v13, s[18:19]
.Ltmp15:
	.loc	2 263 15                        ; standard.py:263:15 @[ standard.py:343:60 @[ sparsemax_aot.py:35:30 ] ]
	s_waitcnt lgkmcnt(2)
	v_add_f32_e32 v21, v19, v23
	s_waitcnt lgkmcnt(1)
	v_add_f32_e32 v23, v20, v24
	;; [unrolled: 2-line block ×3, first 2 shown]
.Ltmp16:
	.loc	2 343 60                        ; standard.py:343:60 @[ sparsemax_aot.py:35:30 ]
	ds_bpermute_b32 v24, v14, v13
	v_cndmask_b32_e64 v19, v21, v19, s[18:19]
	v_cndmask_b32_e64 v20, v23, v20, s[18:19]
	;; [unrolled: 1-line block ×3, first 2 shown]
	ds_bpermute_b32 v21, v14, v19
	ds_bpermute_b32 v22, v14, v20
	;; [unrolled: 1-line block ×3, first 2 shown]
.Ltmp17:
	.loc	2 263 15                        ; standard.py:263:15 @[ standard.py:343:60 @[ sparsemax_aot.py:35:30 ] ]
	s_waitcnt lgkmcnt(3)
	v_add_f32_e32 v23, v13, v24
.Ltmp18:
	.loc	2 343 60                        ; standard.py:343:60 @[ sparsemax_aot.py:35:30 ]
	v_cndmask_b32_e32 v13, v13, v23, vcc
.Ltmp19:
	.loc	2 263 15                        ; standard.py:263:15 @[ standard.py:343:60 @[ sparsemax_aot.py:35:30 ] ]
	s_waitcnt lgkmcnt(2)
	v_add_f32_e32 v21, v19, v21
	s_waitcnt lgkmcnt(1)
	v_add_f32_e32 v22, v20, v22
	;; [unrolled: 2-line block ×3, first 2 shown]
.Ltmp20:
	.loc	2 343 60                        ; standard.py:343:60 @[ sparsemax_aot.py:35:30 ]
	ds_bpermute_b32 v23, v15, v13
	v_cndmask_b32_e32 v19, v19, v21, vcc
	v_cndmask_b32_e32 v20, v20, v22, vcc
	;; [unrolled: 1-line block ×3, first 2 shown]
	ds_bpermute_b32 v14, v15, v19
	ds_bpermute_b32 v21, v15, v20
	;; [unrolled: 1-line block ×3, first 2 shown]
.Ltmp21:
	.loc	2 263 15                        ; standard.py:263:15 @[ standard.py:343:60 @[ sparsemax_aot.py:35:30 ] ]
	s_waitcnt lgkmcnt(3)
	v_add_f32_e32 v22, v13, v23
.Ltmp22:
	.loc	2 343 60                        ; standard.py:343:60 @[ sparsemax_aot.py:35:30 ]
	v_cmp_lt_u32_e32 vcc, 3, v11
.Ltmp23:
	.loc	2 263 15                        ; standard.py:263:15 @[ standard.py:343:60 @[ sparsemax_aot.py:35:30 ] ]
	s_waitcnt lgkmcnt(2)
	v_add_f32_e32 v14, v19, v14
	s_waitcnt lgkmcnt(1)
	v_add_f32_e32 v21, v20, v21
.Ltmp24:
	.loc	2 343 60                        ; standard.py:343:60 @[ sparsemax_aot.py:35:30 ]
	v_cndmask_b32_e32 v13, v13, v22, vcc
.Ltmp25:
	.loc	2 263 15                        ; standard.py:263:15 @[ standard.py:343:60 @[ sparsemax_aot.py:35:30 ] ]
	s_waitcnt lgkmcnt(0)
	v_add_f32_e32 v15, v12, v15
.Ltmp26:
	.loc	2 343 60                        ; standard.py:343:60 @[ sparsemax_aot.py:35:30 ]
	ds_bpermute_b32 v22, v16, v13
	v_cndmask_b32_e32 v14, v19, v14, vcc
	v_cndmask_b32_e32 v19, v20, v21, vcc
	;; [unrolled: 1-line block ×3, first 2 shown]
	ds_bpermute_b32 v15, v16, v14
	ds_bpermute_b32 v20, v16, v19
	;; [unrolled: 1-line block ×3, first 2 shown]
.Ltmp27:
	.loc	2 263 15                        ; standard.py:263:15 @[ standard.py:343:60 @[ sparsemax_aot.py:35:30 ] ]
	s_waitcnt lgkmcnt(3)
	v_add_f32_e32 v21, v13, v22
.Ltmp28:
	.loc	2 343 60                        ; standard.py:343:60 @[ sparsemax_aot.py:35:30 ]
	v_cmp_lt_u32_e32 vcc, 7, v11
.Ltmp29:
	.loc	2 263 15                        ; standard.py:263:15 @[ standard.py:343:60 @[ sparsemax_aot.py:35:30 ] ]
	s_waitcnt lgkmcnt(2)
	v_add_f32_e32 v15, v14, v15
	s_waitcnt lgkmcnt(1)
	v_add_f32_e32 v20, v19, v20
.Ltmp30:
	.loc	2 343 60                        ; standard.py:343:60 @[ sparsemax_aot.py:35:30 ]
	v_cndmask_b32_e32 v13, v13, v21, vcc
	ds_bpermute_b32 v21, v17, v13
	v_cndmask_b32_e32 v14, v14, v15, vcc
.Ltmp31:
	.loc	2 263 15                        ; standard.py:263:15 @[ standard.py:343:60 @[ sparsemax_aot.py:35:30 ] ]
	s_waitcnt lgkmcnt(1)
	v_add_f32_e32 v16, v12, v16
.Ltmp32:
	.loc	2 343 60                        ; standard.py:343:60 @[ sparsemax_aot.py:35:30 ]
	v_cndmask_b32_e32 v15, v19, v20, vcc
	ds_bpermute_b32 v19, v17, v14
	v_cndmask_b32_e32 v16, v12, v16, vcc
	ds_bpermute_b32 v20, v17, v15
	ds_bpermute_b32 v17, v17, v16
.Ltmp33:
	.loc	2 263 15                        ; standard.py:263:15 @[ standard.py:343:60 @[ sparsemax_aot.py:35:30 ] ]
	s_waitcnt lgkmcnt(3)
	v_add_f32_e32 v12, v13, v21
.Ltmp34:
	.loc	2 343 60                        ; standard.py:343:60 @[ sparsemax_aot.py:35:30 ]
	v_cmp_lt_u32_e32 vcc, 15, v11
	s_nop 1
	v_cndmask_b32_e32 v12, v13, v12, vcc
.Ltmp35:
	.loc	2 263 15                        ; standard.py:263:15 @[ standard.py:343:60 @[ sparsemax_aot.py:35:30 ] ]
	s_waitcnt lgkmcnt(2)
	v_add_f32_e32 v13, v14, v19
.Ltmp36:
	.loc	2 343 60                        ; standard.py:343:60 @[ sparsemax_aot.py:35:30 ]
	v_cndmask_b32_e32 v13, v14, v13, vcc
.Ltmp37:
	.loc	2 263 15                        ; standard.py:263:15 @[ standard.py:343:60 @[ sparsemax_aot.py:35:30 ] ]
	s_waitcnt lgkmcnt(1)
	v_add_f32_e32 v14, v15, v20
.Ltmp38:
	.loc	2 343 60                        ; standard.py:343:60 @[ sparsemax_aot.py:35:30 ]
	v_cndmask_b32_e32 v14, v15, v14, vcc
.Ltmp39:
	.loc	2 263 15                        ; standard.py:263:15 @[ standard.py:343:60 @[ sparsemax_aot.py:35:30 ] ]
	s_waitcnt lgkmcnt(0)
	v_add_f32_e32 v15, v16, v17
.Ltmp40:
	.loc	2 343 60                        ; standard.py:343:60 @[ sparsemax_aot.py:35:30 ]
	v_cndmask_b32_e32 v15, v16, v15, vcc
	ds_bpermute_b32 v19, v18, v12
	ds_bpermute_b32 v21, v18, v13
	;; [unrolled: 1-line block ×4, first 2 shown]
	v_cmp_eq_u32_e32 vcc, 63, v11
.Ltmp41:
	.loc	2 263 15                        ; standard.py:263:15 @[ standard.py:343:60 @[ sparsemax_aot.py:35:30 ] ]
	s_waitcnt lgkmcnt(3)
	v_add_f32_e32 v16, v12, v19
	s_waitcnt lgkmcnt(2)
	v_add_f32_e32 v17, v13, v21
	;; [unrolled: 2-line block ×4, first 2 shown]
.Ltmp42:
	.loc	2 343 60                        ; standard.py:343:60 @[ sparsemax_aot.py:35:30 ]
	s_and_saveexec_b64 s[20:21], vcc
	s_cbranch_execz .LBB0_2
; %bb.1:                                ; %.critedge
	.loc	2 0 60 is_stmt 0                ; standard.py:0:60
	v_lshl_add_u32 v20, v10, 2, 0
	.loc	2 343 60                        ; standard.py:343:60 @[ sparsemax_aot.py:35:30 ]
	ds_write2_b32 v20, v16, v17 offset1:4
	ds_write2_b32 v20, v18, v19 offset0:8 offset1:12
.Ltmp43:
.LBB0_2:                                ; %.critedge4
	.loc	2 0 60                          ; standard.py:0:60
	s_or_b64 exec, exec, s[20:21]
	.loc	1 28 8 is_stmt 1                ; sparsemax_aot.py:28:8
	v_mov_b32_e32 v20, 0xff800000
.Ltmp44:
	.loc	2 343 60                        ; standard.py:343:60 @[ sparsemax_aot.py:35:30 ]
	v_cmp_lt_u32_e32 vcc, 31, v11
	v_mov_b32_e32 v24, 0
.Ltmp45:
	.loc	1 28 8                          ; sparsemax_aot.py:28:8
	v_cndmask_b32_e64 v27, v20, v5, s[14:15]
	v_cndmask_b32_e64 v28, v20, v6, s[0:1]
	;; [unrolled: 1-line block ×4, first 2 shown]
.Ltmp46:
	.loc	2 343 60                        ; standard.py:343:60 @[ sparsemax_aot.py:35:30 ]
	v_cndmask_b32_e32 v11, v12, v16, vcc
	v_cndmask_b32_e32 v31, v13, v17, vcc
	;; [unrolled: 1-line block ×4, first 2 shown]
	s_waitcnt lgkmcnt(0)
	s_barrier
	ds_read_b128 v[12:15], v24
	ds_read_b128 v[16:19], v24 offset:16
	ds_read_b128 v[20:23], v24 offset:32
	ds_read_b96 v[24:26], v24 offset:48
	s_movk_i32 s13, 0x7f
.Ltmp47:
	.loc	2 263 15                        ; standard.py:263:15 @[ standard.py:343:60 @[ sparsemax_aot.py:35:30 ] ]
	s_waitcnt lgkmcnt(3)
	v_add_f32_e32 v13, v12, v13
.Ltmp48:
	.loc	2 343 60                        ; standard.py:343:60 @[ sparsemax_aot.py:35:30 ]
	v_cmp_lt_u32_e32 vcc, s13, v0
	v_cmp_eq_u32_e64 s[20:21], 3, v10
	v_cmp_eq_u32_e64 s[22:23], 0, v10
	v_cndmask_b32_e32 v12, v12, v13, vcc
.Ltmp49:
	.loc	2 263 15                        ; standard.py:263:15 @[ standard.py:343:60 @[ sparsemax_aot.py:35:30 ] ]
	v_add_f32_e32 v13, v13, v14
.Ltmp50:
	.loc	2 343 60                        ; standard.py:343:60 @[ sparsemax_aot.py:35:30 ]
	v_cndmask_b32_e64 v12, v12, v13, s[20:21]
.Ltmp51:
	.loc	2 263 15                        ; standard.py:263:15 @[ standard.py:343:60 @[ sparsemax_aot.py:35:30 ] ]
	v_add_f32_e32 v13, v13, v15
	v_add_f32_e32 v12, v11, v12
.Ltmp52:
	.loc	2 343 60                        ; standard.py:343:60 @[ sparsemax_aot.py:35:30 ]
	v_cndmask_b32_e64 v10, v12, v11, s[22:23]
.Ltmp53:
	.loc	2 263 15                        ; standard.py:263:15 @[ standard.py:343:60 @[ sparsemax_aot.py:35:30 ] ]
	s_waitcnt lgkmcnt(2)
	v_add_f32_e32 v11, v13, v16
.Ltmp54:
	.loc	2 343 60                        ; standard.py:343:60 @[ sparsemax_aot.py:35:30 ]
	v_cndmask_b32_e64 v12, v11, v13, s[22:23]
.Ltmp55:
	.loc	2 263 15                        ; standard.py:263:15 @[ standard.py:343:60 @[ sparsemax_aot.py:35:30 ] ]
	v_add_f32_e32 v11, v11, v17
.Ltmp56:
	.loc	2 343 60                        ; standard.py:343:60 @[ sparsemax_aot.py:35:30 ]
	v_cndmask_b32_e32 v12, v12, v11, vcc
.Ltmp57:
	.loc	2 263 15                        ; standard.py:263:15 @[ standard.py:343:60 @[ sparsemax_aot.py:35:30 ] ]
	v_add_f32_e32 v11, v11, v18
.Ltmp58:
	.loc	2 343 60                        ; standard.py:343:60 @[ sparsemax_aot.py:35:30 ]
	v_cndmask_b32_e64 v12, v12, v11, s[20:21]
.Ltmp59:
	.loc	2 263 15                        ; standard.py:263:15 @[ standard.py:343:60 @[ sparsemax_aot.py:35:30 ] ]
	v_add_f32_e32 v11, v11, v19
	s_waitcnt lgkmcnt(1)
	v_add_f32_e32 v13, v11, v20
.Ltmp60:
	.loc	2 343 60                        ; standard.py:343:60 @[ sparsemax_aot.py:35:30 ]
	v_cndmask_b32_e64 v11, v13, v11, s[22:23]
.Ltmp61:
	.loc	2 263 15                        ; standard.py:263:15 @[ standard.py:343:60 @[ sparsemax_aot.py:35:30 ] ]
	v_add_f32_e32 v13, v13, v21
.Ltmp62:
	.loc	2 343 60                        ; standard.py:343:60 @[ sparsemax_aot.py:35:30 ]
	v_cndmask_b32_e32 v11, v11, v13, vcc
.Ltmp63:
	.loc	2 263 15                        ; standard.py:263:15 @[ standard.py:343:60 @[ sparsemax_aot.py:35:30 ] ]
	v_add_f32_e32 v13, v13, v22
.Ltmp64:
	.loc	2 343 60                        ; standard.py:343:60 @[ sparsemax_aot.py:35:30 ]
	v_cndmask_b32_e64 v11, v11, v13, s[20:21]
.Ltmp65:
	.loc	2 263 15                        ; standard.py:263:15 @[ standard.py:343:60 @[ sparsemax_aot.py:35:30 ] ]
	v_add_f32_e32 v13, v13, v23
	s_waitcnt lgkmcnt(0)
	v_add_f32_e32 v14, v13, v24
.Ltmp66:
	.loc	2 343 60                        ; standard.py:343:60 @[ sparsemax_aot.py:35:30 ]
	v_cndmask_b32_e64 v13, v14, v13, s[22:23]
.Ltmp67:
	.loc	2 263 15                        ; standard.py:263:15 @[ standard.py:343:60 @[ sparsemax_aot.py:35:30 ] ]
	v_add_f32_e32 v14, v14, v25
.Ltmp68:
	.loc	2 343 60                        ; standard.py:343:60 @[ sparsemax_aot.py:35:30 ]
	v_cndmask_b32_e32 v13, v13, v14, vcc
.Ltmp69:
	.loc	2 263 15                        ; standard.py:263:15 @[ standard.py:343:60 @[ sparsemax_aot.py:35:30 ] ]
	v_add_f32_e32 v14, v14, v26
.Ltmp70:
	.loc	2 343 60                        ; standard.py:343:60 @[ sparsemax_aot.py:35:30 ]
	v_cndmask_b32_e64 v13, v13, v14, s[20:21]
.Ltmp71:
	.loc	1 37 16                         ; sparsemax_aot.py:37:16
	v_add_u32_e32 v14, 1, v9
	.loc	1 37 22 is_stmt 0               ; sparsemax_aot.py:37:22
	v_cvt_f32_u32_e32 v14, v14
	.loc	1 38 20 is_stmt 1               ; sparsemax_aot.py:38:20
	v_add_f32_e32 v10, -1.0, v10
	.loc	1 37 16                         ; sparsemax_aot.py:37:16
	v_add_u32_e32 v15, 0x101, v9
	.loc	1 37 22 is_stmt 0               ; sparsemax_aot.py:37:22
	v_cvt_f32_u32_e32 v15, v15
	.loc	1 38 27 is_stmt 1               ; sparsemax_aot.py:38:27
	v_div_scale_f32 v17, s[20:21], v14, v14, v10
	v_rcp_f32_e32 v18, v17
.Ltmp72:
	.loc	2 263 15                        ; standard.py:263:15 @[ standard.py:343:60 @[ sparsemax_aot.py:35:30 ] ]
	v_add_f32_e32 v12, v31, v12
.Ltmp73:
	.loc	1 38 20                         ; sparsemax_aot.py:38:20
	v_add_f32_e32 v12, -1.0, v12
	.loc	1 37 16                         ; sparsemax_aot.py:37:16
	v_add_u32_e32 v16, 0x201, v9
	.loc	1 38 27                         ; sparsemax_aot.py:38:27
	v_fma_f32 v19, -v17, v18, 1.0
	v_fmac_f32_e32 v18, v19, v18
	v_div_scale_f32 v19, vcc, v10, v14, v10
	v_mul_f32_e32 v20, v19, v18
	v_fma_f32 v21, -v17, v20, v19
	v_fmac_f32_e32 v20, v21, v18
	v_fma_f32 v17, -v17, v20, v19
	v_div_scale_f32 v19, s[20:21], v15, v15, v12
	v_rcp_f32_e32 v21, v19
	v_div_fmas_f32 v17, v17, v18, v20
	.loc	1 37 22                         ; sparsemax_aot.py:37:22
	v_cvt_f32_u32_e32 v16, v16
	.loc	1 38 27                         ; sparsemax_aot.py:38:27
	v_div_fixup_f32 v10, v17, v14, v10
	v_fma_f32 v14, -v19, v21, 1.0
	v_fmac_f32_e32 v21, v14, v21
	v_div_scale_f32 v14, vcc, v12, v15, v12
.Ltmp74:
	.loc	2 263 15                        ; standard.py:263:15 @[ standard.py:343:60 @[ sparsemax_aot.py:35:30 ] ]
	v_add_f32_e32 v11, v32, v11
.Ltmp75:
	.loc	1 38 27                         ; sparsemax_aot.py:38:27
	v_mul_f32_e32 v17, v14, v21
	.loc	1 38 20 is_stmt 0               ; sparsemax_aot.py:38:20
	v_add_f32_e32 v11, -1.0, v11
	.loc	1 38 27                         ; sparsemax_aot.py:38:27
	v_fma_f32 v18, -v19, v17, v14
	v_fmac_f32_e32 v17, v18, v21
	v_div_scale_f32 v18, s[20:21], v16, v16, v11
	v_fma_f32 v14, -v19, v17, v14
	v_rcp_f32_e32 v19, v18
	.loc	1 37 16 is_stmt 1               ; sparsemax_aot.py:37:16
	v_add_u32_e32 v9, 0x301, v9
	.loc	1 38 27                         ; sparsemax_aot.py:38:27
	v_div_fmas_f32 v14, v14, v21, v17
	.loc	1 37 22                         ; sparsemax_aot.py:37:22
	v_cvt_f32_u32_e32 v9, v9
	.loc	1 38 27                         ; sparsemax_aot.py:38:27
	v_div_fixup_f32 v12, v14, v15, v12
	v_fma_f32 v14, -v18, v19, 1.0
	v_fmac_f32_e32 v19, v14, v19
	v_div_scale_f32 v14, vcc, v11, v16, v11
.Ltmp76:
	.loc	2 263 15                        ; standard.py:263:15 @[ standard.py:343:60 @[ sparsemax_aot.py:35:30 ] ]
	v_add_f32_e32 v13, v33, v13
.Ltmp77:
	.loc	1 38 27                         ; sparsemax_aot.py:38:27
	v_mul_f32_e32 v15, v14, v19
	.loc	1 38 20 is_stmt 0               ; sparsemax_aot.py:38:20
	v_add_f32_e32 v13, -1.0, v13
	.loc	1 38 27                         ; sparsemax_aot.py:38:27
	v_fma_f32 v17, -v18, v15, v14
	v_fmac_f32_e32 v15, v17, v19
	v_div_scale_f32 v17, s[20:21], v9, v9, v13
	v_fma_f32 v14, -v18, v15, v14
	v_rcp_f32_e32 v18, v17
	v_div_fmas_f32 v14, v14, v19, v15
	v_div_fixup_f32 v11, v14, v16, v11
	.loc	1 40 32 is_stmt 1               ; sparsemax_aot.py:40:32
	v_cmp_gt_f32_e64 s[20:21], v28, v12
	.loc	1 38 27                         ; sparsemax_aot.py:38:27
	v_fma_f32 v14, -v17, v18, 1.0
	v_fmac_f32_e32 v18, v14, v18
	v_div_scale_f32 v14, vcc, v13, v9, v13
	v_mul_f32_e32 v15, v14, v18
	v_fma_f32 v16, -v17, v15, v14
	v_fmac_f32_e32 v15, v16, v18
	v_fma_f32 v14, -v17, v15, v14
	v_div_fmas_f32 v14, v14, v18, v15
	v_div_fixup_f32 v9, v14, v9, v13
	.loc	1 40 32                         ; sparsemax_aot.py:40:32
	v_cmp_gt_f32_e32 vcc, v27, v10
	v_cmp_gt_f32_e64 s[22:23], v29, v11
	v_cmp_gt_f32_e64 s[24:25], v30, v9
	.loc	1 40 41 is_stmt 0               ; sparsemax_aot.py:40:41
	s_and_b64 vcc, s[14:15], vcc
	s_and_b64 s[0:1], s[0:1], s[20:21]
	.loc	1 42 30 is_stmt 1               ; sparsemax_aot.py:42:30
	v_cndmask_b32_e64 v9, 0, 1, vcc
	v_cndmask_b32_e64 v10, 0, 1, s[0:1]
	.loc	1 40 41                         ; sparsemax_aot.py:40:41
	s_and_b64 s[6:7], s[6:7], s[22:23]
	s_and_b64 s[8:9], s[8:9], s[24:25]
	.loc	1 42 30                         ; sparsemax_aot.py:42:30
	v_cndmask_b32_e64 v11, 0, 1, s[6:7]
	v_cndmask_b32_e64 v12, 0, 1, s[8:9]
.Ltmp78:
	.loc	2 263 15                        ; standard.py:263:15 @[ standard.py:293:36 @[ sparsemax_aot.py:42:41 ] ]
	v_add_u32_e32 v9, v10, v9
	v_add3_u32 v9, v9, v11, v12
.Ltmp79:
	.loc	2 293 36                        ; standard.py:293:36 @[ sparsemax_aot.py:42:41 ]
	s_and_b32 s5, s5, 3
	s_waitcnt lgkmcnt(0)
.Ltmp80:
	.loc	2 263 15                        ; standard.py:263:15 @[ standard.py:293:36 @[ sparsemax_aot.py:42:41 ] ]
	v_add_u32_dpp v9, v9, v9 row_shr:8 row_mask:0xf bank_mask:0xf bound_ctrl:1
.Ltmp81:
	.loc	2 293 36                        ; standard.py:293:36 @[ sparsemax_aot.py:42:41 ]
	s_barrier
.Ltmp82:
	.loc	2 263 15                        ; standard.py:263:15 @[ standard.py:293:36 @[ sparsemax_aot.py:42:41 ] ]
	s_nop 0
	v_add_u32_dpp v9, v9, v9 row_shr:4 row_mask:0xf bank_mask:0xf bound_ctrl:1
	s_nop 1
	v_add_u32_dpp v9, v9, v9 row_shr:2 row_mask:0xf bank_mask:0xf bound_ctrl:1
	;; [unrolled: 2-line block ×3, first 2 shown]
.Ltmp83:
	.loc	2 293 36                        ; standard.py:293:36 @[ sparsemax_aot.py:42:41 ]
	v_mov_b32_e32 v10, v9
	s_nop 1
	v_mov_b32_dpp v10, v10 row_bcast:15 row_mask:0xa bank_mask:0xf bound_ctrl:1
.Ltmp84:
	.loc	2 263 15                        ; standard.py:263:15 @[ standard.py:293:36 @[ sparsemax_aot.py:42:41 ] ]
	v_add_u32_e32 v9, v9, v10
	s_nop 1
	v_add_u32_dpp v9, v9, v9 row_bcast:31 row_mask:0xf bank_mask:0xf bound_ctrl:1
.Ltmp85:
	.loc	2 293 36                        ; standard.py:293:36 @[ sparsemax_aot.py:42:41 ]
	s_nop 0
	v_readlane_b32 s13, v9, 63
	s_and_saveexec_b64 s[14:15], s[18:19]
; %bb.3:
	.loc	2 0 36 is_stmt 0                ; standard.py:0:36
	s_lshl2_add_u32 s17, s5, 0
	.loc	2 293 36                        ; standard.py:293:36 @[ sparsemax_aot.py:42:41 ]
	v_mov_b32_e32 v9, s17
	v_mov_b32_e32 v10, s13
	ds_write_b32 v9, v10
; %bb.4:
	.loc	2 0 36                          ; standard.py:0:36
	s_or_b64 exec, exec, s[14:15]
	.loc	2 293 36                        ; standard.py:293:36 @[ sparsemax_aot.py:42:41 ]
	v_cmp_gt_u32_e64 s[14:15], 4, v0
	v_lshl_add_u32 v9, v0, 2, 0
.Ltmp86:
	.loc	1 42 41 is_stmt 1               ; sparsemax_aot.py:42:41
	v_mov_b32_e32 v10, 0
.Ltmp87:
	.loc	2 293 36                        ; standard.py:293:36 @[ sparsemax_aot.py:42:41 ]
	s_waitcnt lgkmcnt(0)
	s_barrier
	s_and_saveexec_b64 s[20:21], s[14:15]
; %bb.5:
	ds_read_b32 v10, v9
; %bb.6:
	.loc	2 0 36 is_stmt 0                ; standard.py:0:36
	s_or_b64 exec, exec, s[20:21]
	.loc	2 293 36                        ; standard.py:293:36 @[ sparsemax_aot.py:42:41 ]
	s_waitcnt lgkmcnt(0)
	v_mov_b32_e32 v11, v10
	v_and_b32_e32 v0, 3, v0
	v_cmp_eq_u32_e64 s[20:21], 0, v0
	v_mov_b32_dpp v11, v11 quad_perm:[2,3,0,1] row_mask:0xf bank_mask:0xf
.Ltmp88:
	.loc	2 263 15 is_stmt 1              ; standard.py:263:15 @[ standard.py:293:36 @[ sparsemax_aot.py:42:41 ] ]
	v_add_u32_e32 v10, v11, v10
.Ltmp89:
	.loc	2 293 36                        ; standard.py:293:36 @[ sparsemax_aot.py:42:41 ]
	v_mov_b32_e32 v11, v10
	s_and_b64 s[20:21], s[14:15], s[20:21]
	s_nop 0
	v_mov_b32_dpp v11, v11 quad_perm:[1,0,3,2] row_mask:0xf bank_mask:0xf
	s_and_saveexec_b64 s[22:23], s[20:21]
; %bb.7:
	.loc	2 0 36 is_stmt 0                ; standard.py:0:36
	v_add_u32_e32 v0, v10, v11
	.loc	2 293 36                        ; standard.py:293:36 @[ sparsemax_aot.py:42:41 ]
	ds_write_b32 v9, v0
.Ltmp90:
; %bb.8:
	.loc	2 0 36                          ; standard.py:0:36
	s_or_b64 exec, exec, s[22:23]
	.loc	1 46 49 is_stmt 1               ; sparsemax_aot.py:46:49
	v_cndmask_b32_e32 v5, 0, v5, vcc
	v_cndmask_b32_e64 v6, 0, v6, s[0:1]
	v_cndmask_b32_e64 v7, 0, v7, s[6:7]
.Ltmp91:
	.loc	2 263 15                        ; standard.py:263:15 @[ standard.py:293:36 @[ sparsemax_aot.py:46:55 ] ]
	v_add_f32_e32 v5, v5, v6
.Ltmp92:
	.loc	1 46 49                         ; sparsemax_aot.py:46:49
	v_cndmask_b32_e64 v8, 0, v8, s[8:9]
.Ltmp93:
	.loc	2 263 15                        ; standard.py:263:15 @[ standard.py:293:36 @[ sparsemax_aot.py:46:55 ] ]
	v_add_f32_e32 v5, v5, v7
	v_add_f32_e32 v5, v5, v8
.Ltmp94:
	.loc	2 293 36                        ; standard.py:293:36 @[ sparsemax_aot.py:42:41 ]
	v_mov_b32_e32 v0, 0
	s_waitcnt lgkmcnt(0)
.Ltmp95:
	.loc	2 263 15                        ; standard.py:263:15 @[ standard.py:293:36 @[ sparsemax_aot.py:46:55 ] ]
	v_add_f32_dpp v5, v5, v5 row_shr:8 row_mask:0xf bank_mask:0xf bound_ctrl:1
.Ltmp96:
	.loc	2 293 36                        ; standard.py:293:36 @[ sparsemax_aot.py:42:41 ]
	s_barrier
	ds_read_b32 v0, v0
.Ltmp97:
	.loc	2 263 15                        ; standard.py:263:15 @[ standard.py:293:36 @[ sparsemax_aot.py:46:55 ] ]
	v_add_f32_dpp v5, v5, v5 row_shr:4 row_mask:0xf bank_mask:0xf bound_ctrl:1
.Ltmp98:
	.loc	2 293 36                        ; standard.py:293:36 @[ sparsemax_aot.py:46:55 ]
	s_waitcnt lgkmcnt(0)
	s_barrier
.Ltmp99:
	.loc	2 263 15                        ; standard.py:263:15 @[ standard.py:293:36 @[ sparsemax_aot.py:46:55 ] ]
	v_add_f32_dpp v5, v5, v5 row_shr:2 row_mask:0xf bank_mask:0xf bound_ctrl:1
	s_nop 1
	v_add_f32_dpp v5, v5, v5 row_shr:1 row_mask:0xf bank_mask:0xf bound_ctrl:1
.Ltmp100:
	.loc	2 293 36                        ; standard.py:293:36 @[ sparsemax_aot.py:46:55 ]
	v_mov_b32_e32 v6, v5
	s_nop 1
	v_mov_b32_dpp v6, v6 row_bcast:15 row_mask:0xa bank_mask:0xf bound_ctrl:1
.Ltmp101:
	.loc	2 263 15                        ; standard.py:263:15 @[ standard.py:293:36 @[ sparsemax_aot.py:46:55 ] ]
	v_add_f32_e32 v5, v5, v6
	s_nop 1
	v_add_f32_dpp v5, v5, v5 row_bcast:31 row_mask:0xf bank_mask:0xf bound_ctrl:1
.Ltmp102:
	.loc	2 293 36                        ; standard.py:293:36 @[ sparsemax_aot.py:46:55 ]
	s_nop 0
	v_readlane_b32 s6, v5, 63
	s_and_saveexec_b64 s[0:1], s[18:19]
; %bb.9:
	.loc	2 0 36 is_stmt 0                ; standard.py:0:36
	s_lshl2_add_u32 s5, s5, 0
	.loc	2 293 36                        ; standard.py:293:36 @[ sparsemax_aot.py:46:55 ]
	v_mov_b32_e32 v5, s5
	v_mov_b32_e32 v6, s6
	ds_write_b32 v5, v6
.Ltmp103:
; %bb.10:
	.loc	2 0 36                          ; standard.py:0:36
	s_or_b64 exec, exec, s[0:1]
	.loc	1 46 55 is_stmt 1               ; sparsemax_aot.py:46:55
	v_mov_b32_e32 v5, 0
.Ltmp104:
	.loc	2 293 36                        ; standard.py:293:36 @[ sparsemax_aot.py:46:55 ]
	s_waitcnt lgkmcnt(0)
	s_barrier
	s_and_saveexec_b64 s[0:1], s[14:15]
; %bb.11:
	ds_read_b32 v5, v9
; %bb.12:
	.loc	2 0 36 is_stmt 0                ; standard.py:0:36
	s_or_b64 exec, exec, s[0:1]
	.loc	2 293 36                        ; standard.py:293:36 @[ sparsemax_aot.py:46:55 ]
	s_waitcnt lgkmcnt(0)
	v_mov_b32_e32 v6, v5
	s_nop 1
	v_mov_b32_dpp v6, v6 quad_perm:[2,3,0,1] row_mask:0xf bank_mask:0xf
.Ltmp105:
	.loc	2 263 15 is_stmt 1              ; standard.py:263:15 @[ standard.py:293:36 @[ sparsemax_aot.py:46:55 ] ]
	v_add_f32_e32 v5, v5, v6
.Ltmp106:
	.loc	2 293 36                        ; standard.py:293:36 @[ sparsemax_aot.py:46:55 ]
	v_mov_b32_e32 v6, v5
	s_nop 1
	v_mov_b32_dpp v6, v6 quad_perm:[1,0,3,2] row_mask:0xf bank_mask:0xf
	s_and_saveexec_b64 s[0:1], s[20:21]
; %bb.13:
	.loc	2 0 36 is_stmt 0                ; standard.py:0:36
	v_add_f32_e32 v5, v5, v6
	.loc	2 293 36                        ; standard.py:293:36 @[ sparsemax_aot.py:46:55 ]
	ds_write_b32 v9, v5
.Ltmp107:
; %bb.14:
	.loc	2 0 36                          ; standard.py:0:36
	s_or_b64 exec, exec, s[0:1]
	.loc	1 22 39 is_stmt 1               ; sparsemax_aot.py:22:39
	s_mul_i32 s0, s12, s16
	.loc	1 22 29 is_stmt 0               ; sparsemax_aot.py:22:29
	s_ashr_i32 s1, s0, 31
	s_lshl_b64 s[0:1], s[0:1], 2
	s_add_u32 s0, s10, s0
	.loc	1 20 39 is_stmt 1               ; sparsemax_aot.py:20:39
	s_mul_i32 s4, s4, s16
	.loc	1 22 29                         ; sparsemax_aot.py:22:29
	s_addc_u32 s1, s11, s1
	.loc	1 20 29                         ; sparsemax_aot.py:20:29
	s_ashr_i32 s5, s4, 31
	s_lshl_b64 s[4:5], s[4:5], 2
	s_add_u32 s4, s2, s4
	s_addc_u32 s2, s3, s5
	.loc	1 51 8                          ; sparsemax_aot.py:51:8
	s_and_b32 s5, s2, 0xffff
	s_mov_b32 s7, 0x27000
	s_mov_b32 s6, 0x7ffffffe
.Ltmp108:
	.loc	2 293 36                        ; standard.py:293:36 @[ sparsemax_aot.py:46:55 ]
	s_waitcnt lgkmcnt(0)
	s_barrier
.Ltmp109:
	.loc	1 51 8                          ; sparsemax_aot.py:51:8
	buffer_load_dword v5, v1, s[4:7], 0 offen sc0 nt
	buffer_load_dword v6, v2, s[4:7], 0 offen sc0 nt
	;; [unrolled: 1-line block ×4, first 2 shown]
.Ltmp110:
	.loc	2 293 36                        ; standard.py:293:36 @[ sparsemax_aot.py:46:55 ]
	v_mov_b32_e32 v9, 0
	ds_read_b32 v9, v9
.Ltmp111:
	.loc	1 43 38                         ; sparsemax_aot.py:43:38
	v_max_i32_e32 v0, 1, v0
	.loc	1 44 25                         ; sparsemax_aot.py:44:25
	v_cvt_f32_u32_e32 v0, v0
	.loc	1 61 8                          ; sparsemax_aot.py:61:8
	s_mov_b32 s2, s6
	s_mov_b32 s3, s7
	.loc	1 48 15                         ; sparsemax_aot.py:48:15
	s_waitcnt lgkmcnt(0)
	v_add_f32_e32 v9, -1.0, v9
	.loc	1 48 22 is_stmt 0               ; sparsemax_aot.py:48:22
	v_div_scale_f32 v10, s[4:5], v0, v0, v9
	v_rcp_f32_e32 v11, v10
	v_div_scale_f32 v12, vcc, v9, v0, v9
	.loc	1 61 8 is_stmt 1                ; sparsemax_aot.py:61:8
	s_and_b32 s1, s1, 0xffff
	.loc	1 48 22                         ; sparsemax_aot.py:48:22
	v_fma_f32 v13, -v10, v11, 1.0
	v_fmac_f32_e32 v11, v13, v11
	v_mul_f32_e32 v13, v12, v11
	v_fma_f32 v14, -v10, v13, v12
	v_fmac_f32_e32 v13, v14, v11
	v_fma_f32 v10, -v10, v13, v12
	v_div_fmas_f32 v10, v10, v11, v13
	v_div_fixup_f32 v0, v10, v0, v9
	.loc	1 57 29                         ; sparsemax_aot.py:57:29
	s_waitcnt vmcnt(3)
	v_sub_f32_e32 v5, v5, v0
	s_waitcnt vmcnt(2)
	v_sub_f32_e32 v6, v6, v0
	;; [unrolled: 2-line block ×4, first 2 shown]
	.loc	1 57 34 is_stmt 0               ; sparsemax_aot.py:57:34
	v_max_f32_e32 v5, 0, v5
	v_max_f32_e32 v6, 0, v6
	;; [unrolled: 1-line block ×4, first 2 shown]
	.loc	1 61 8 is_stmt 1                ; sparsemax_aot.py:61:8
	buffer_store_dword v5, v1, s[0:3], 0 offen sc0 nt
	buffer_store_dword v6, v2, s[0:3], 0 offen sc0 nt
	;; [unrolled: 1-line block ×4, first 2 shown]
	.loc	1 59 4                          ; sparsemax_aot.py:59:4
	s_endpgm
.Ltmp112:
	.section	.rodata,"a",@progbits
	.p2align	6, 0x0
	.amdhsa_kernel _sparsemax_forward_kernel
		.amdhsa_group_segment_fixed_size 0
		.amdhsa_private_segment_fixed_size 0
		.amdhsa_kernarg_size 64
		.amdhsa_user_sgpr_count 16
		.amdhsa_user_sgpr_dispatch_ptr 0
		.amdhsa_user_sgpr_queue_ptr 0
		.amdhsa_user_sgpr_kernarg_segment_ptr 1
		.amdhsa_user_sgpr_dispatch_id 0
		.amdhsa_user_sgpr_kernarg_preload_length 14
		.amdhsa_user_sgpr_kernarg_preload_offset 0
		.amdhsa_user_sgpr_private_segment_size 0
		.amdhsa_uses_dynamic_stack 0
		.amdhsa_enable_private_segment 0
		.amdhsa_system_sgpr_workgroup_id_x 1
		.amdhsa_system_sgpr_workgroup_id_y 0
		.amdhsa_system_sgpr_workgroup_id_z 0
		.amdhsa_system_sgpr_workgroup_info 0
		.amdhsa_system_vgpr_workitem_id 0
		.amdhsa_next_free_vgpr 34
		.amdhsa_next_free_sgpr 26
		.amdhsa_accum_offset 36
		.amdhsa_reserve_vcc 1
		.amdhsa_reserve_xnack_mask 1
		.amdhsa_float_round_mode_32 0
		.amdhsa_float_round_mode_16_64 0
		.amdhsa_float_denorm_mode_32 3
		.amdhsa_float_denorm_mode_16_64 3
		.amdhsa_dx10_clamp 1
		.amdhsa_ieee_mode 1
		.amdhsa_fp16_overflow 0
		.amdhsa_tg_split 0
		.amdhsa_exception_fp_ieee_invalid_op 0
		.amdhsa_exception_fp_denorm_src 0
		.amdhsa_exception_fp_ieee_div_zero 0
		.amdhsa_exception_fp_ieee_overflow 0
		.amdhsa_exception_fp_ieee_underflow 0
		.amdhsa_exception_fp_ieee_inexact 0
		.amdhsa_exception_int_div_zero 0
	.end_amdhsa_kernel
	.text
.Lfunc_end0:
	.size	_sparsemax_forward_kernel, .Lfunc_end0-_sparsemax_forward_kernel
	.cfi_endproc
                                        ; -- End function
	.set _sparsemax_forward_kernel.num_vgpr, 34
	.set _sparsemax_forward_kernel.num_agpr, 0
	.set _sparsemax_forward_kernel.numbered_sgpr, 26
	.set _sparsemax_forward_kernel.num_named_barrier, 0
	.set _sparsemax_forward_kernel.private_seg_size, 0
	.set _sparsemax_forward_kernel.uses_vcc, 1
	.set _sparsemax_forward_kernel.uses_flat_scratch, 0
	.set _sparsemax_forward_kernel.has_dyn_sized_stack, 0
	.set _sparsemax_forward_kernel.has_recursion, 0
	.set _sparsemax_forward_kernel.has_indirect_call, 0
	.section	.AMDGPU.csdata,"",@progbits
; Kernel info:
; codeLenInByte = 2684
; TotalNumSgprs: 32
; NumVgprs: 34
; NumAgprs: 0
; TotalNumVgprs: 34
; ScratchSize: 0
; MemoryBound: 0
; FloatMode: 240
; IeeeMode: 1
; LDSByteSize: 0 bytes/workgroup (compile time only)
; SGPRBlocks: 3
; VGPRBlocks: 4
; NumSGPRsForWavesPerEU: 32
; NumVGPRsForWavesPerEU: 34
; AccumOffset: 36
; Occupancy: 8
; WaveLimiterHint : 0
; COMPUTE_PGM_RSRC2:SCRATCH_EN: 0
; COMPUTE_PGM_RSRC2:USER_SGPR: 16
; COMPUTE_PGM_RSRC2:TRAP_HANDLER: 0
; COMPUTE_PGM_RSRC2:TGID_X_EN: 1
; COMPUTE_PGM_RSRC2:TGID_Y_EN: 0
; COMPUTE_PGM_RSRC2:TGID_Z_EN: 0
; COMPUTE_PGM_RSRC2:TIDIG_COMP_CNT: 0
; COMPUTE_PGM_RSRC3_GFX90A:ACCUM_OFFSET: 8
; COMPUTE_PGM_RSRC3_GFX90A:TG_SPLIT: 0
	.text
	.p2alignl 6, 3212836864
	.fill 256, 4, 3212836864
	.section	.AMDGPU.gpr_maximums,"",@progbits
	.set amdgpu.max_num_vgpr, 0
	.set amdgpu.max_num_agpr, 0
	.set amdgpu.max_num_sgpr, 0
	.set amdgpu.max_num_named_barrier, 0
	.text
	.section	.debug_abbrev,"",@progbits
	.byte	1                               ; Abbreviation Code
	.byte	17                              ; DW_TAG_compile_unit
	.byte	1                               ; DW_CHILDREN_yes
	.byte	37                              ; DW_AT_producer
	.byte	14                              ; DW_FORM_strp
	.byte	19                              ; DW_AT_language
	.byte	5                               ; DW_FORM_data2
	.byte	3                               ; DW_AT_name
	.byte	14                              ; DW_FORM_strp
	.byte	16                              ; DW_AT_stmt_list
	.byte	23                              ; DW_FORM_sec_offset
	.byte	27                              ; DW_AT_comp_dir
	.byte	14                              ; DW_FORM_strp
	.byte	17                              ; DW_AT_low_pc
	.byte	1                               ; DW_FORM_addr
	.byte	18                              ; DW_AT_high_pc
	.byte	6                               ; DW_FORM_data4
	.byte	0                               ; EOM(1)
	.byte	0                               ; EOM(2)
	.byte	2                               ; Abbreviation Code
	.byte	46                              ; DW_TAG_subprogram
	.byte	0                               ; DW_CHILDREN_no
	.byte	3                               ; DW_AT_name
	.byte	14                              ; DW_FORM_strp
	.byte	32                              ; DW_AT_inline
	.byte	11                              ; DW_FORM_data1
	.byte	0                               ; EOM(1)
	.byte	0                               ; EOM(2)
	.byte	3                               ; Abbreviation Code
	.byte	46                              ; DW_TAG_subprogram
	.byte	1                               ; DW_CHILDREN_yes
	.byte	17                              ; DW_AT_low_pc
	.byte	1                               ; DW_FORM_addr
	.byte	18                              ; DW_AT_high_pc
	.byte	6                               ; DW_FORM_data4
	.byte	49                              ; DW_AT_abstract_origin
	.byte	19                              ; DW_FORM_ref4
	.byte	0                               ; EOM(1)
	.byte	0                               ; EOM(2)
	.byte	4                               ; Abbreviation Code
	.byte	29                              ; DW_TAG_inlined_subroutine
	.byte	1                               ; DW_CHILDREN_yes
	.byte	49                              ; DW_AT_abstract_origin
	.byte	19                              ; DW_FORM_ref4
	.byte	85                              ; DW_AT_ranges
	.byte	23                              ; DW_FORM_sec_offset
	.byte	88                              ; DW_AT_call_file
	.byte	11                              ; DW_FORM_data1
	.byte	89                              ; DW_AT_call_line
	.byte	11                              ; DW_FORM_data1
	.byte	87                              ; DW_AT_call_column
	.byte	11                              ; DW_FORM_data1
	.byte	0                               ; EOM(1)
	.byte	0                               ; EOM(2)
	.byte	5                               ; Abbreviation Code
	.byte	29                              ; DW_TAG_inlined_subroutine
	.byte	0                               ; DW_CHILDREN_no
	.byte	49                              ; DW_AT_abstract_origin
	.byte	19                              ; DW_FORM_ref4
	.byte	85                              ; DW_AT_ranges
	.byte	23                              ; DW_FORM_sec_offset
	.byte	88                              ; DW_AT_call_file
	.byte	11                              ; DW_FORM_data1
	.byte	89                              ; DW_AT_call_line
	.byte	5                               ; DW_FORM_data2
	.byte	87                              ; DW_AT_call_column
	.byte	11                              ; DW_FORM_data1
	.byte	0                               ; EOM(1)
	.byte	0                               ; EOM(2)
	;; [unrolled: 1-line block ×3, first 2 shown]
	.section	.debug_info,"",@progbits
.Lcu_begin0:
	.long	.Ldebug_info_end0-.Ldebug_info_start0 ; Length of Unit
.Ldebug_info_start0:
	.short	4                               ; DWARF version number
	.long	.debug_abbrev                   ; Offset Into Abbrev. Section
	.byte	8                               ; Address Size (in bytes)
	.byte	1                               ; Abbrev [1] 0xb:0x86 DW_TAG_compile_unit
	.long	.Linfo_string0                  ; DW_AT_producer
	.short	2                               ; DW_AT_language
	.long	.Linfo_string1                  ; DW_AT_name
	.long	.Lline_table_start0             ; DW_AT_stmt_list
	.long	.Linfo_string2                  ; DW_AT_comp_dir
	.quad	.Lfunc_begin0                   ; DW_AT_low_pc
	.long	.Lfunc_end0-.Lfunc_begin0       ; DW_AT_high_pc
	.byte	2                               ; Abbrev [2] 0x2a:0x6 DW_TAG_subprogram
	.long	.Linfo_string3                  ; DW_AT_name
	.byte	1                               ; DW_AT_inline
	.byte	3                               ; Abbrev [3] 0x30:0x60 DW_TAG_subprogram
	.quad	.Lfunc_begin0                   ; DW_AT_low_pc
	.long	.Lfunc_end0-.Lfunc_begin0       ; DW_AT_high_pc
	.long	42                              ; DW_AT_abstract_origin
	.byte	4                               ; Abbrev [4] 0x41:0x1a DW_TAG_inlined_subroutine
	.long	42                              ; DW_AT_abstract_origin
	.long	.Ldebug_ranges0                 ; DW_AT_ranges
	.byte	1                               ; DW_AT_call_file
	.byte	46                              ; DW_AT_call_line
	.byte	55                              ; DW_AT_call_column
	.byte	5                               ; Abbrev [5] 0x4d:0xd DW_TAG_inlined_subroutine
	.long	42                              ; DW_AT_abstract_origin
	.long	.Ldebug_ranges1                 ; DW_AT_ranges
	.byte	2                               ; DW_AT_call_file
	.short	293                             ; DW_AT_call_line
	.byte	36                              ; DW_AT_call_column
	.byte	0                               ; End Of Children Mark
	.byte	4                               ; Abbrev [4] 0x5b:0x1a DW_TAG_inlined_subroutine
	.long	42                              ; DW_AT_abstract_origin
	.long	.Ldebug_ranges2                 ; DW_AT_ranges
	.byte	1                               ; DW_AT_call_file
	.byte	35                              ; DW_AT_call_line
	.byte	30                              ; DW_AT_call_column
	.byte	5                               ; Abbrev [5] 0x67:0xd DW_TAG_inlined_subroutine
	.long	42                              ; DW_AT_abstract_origin
	.long	.Ldebug_ranges3                 ; DW_AT_ranges
	.byte	2                               ; DW_AT_call_file
	.short	343                             ; DW_AT_call_line
	.byte	60                              ; DW_AT_call_column
	.byte	0                               ; End Of Children Mark
	;; [unrolled: 13-line block ×3, first 2 shown]
	.byte	0                               ; End Of Children Mark
	.byte	0                               ; End Of Children Mark
.Ldebug_info_end0:
	.section	.debug_ranges,"",@progbits
.Ldebug_ranges0:
	.quad	.Ltmp2-.Lfunc_begin0
	.quad	.Ltmp3-.Lfunc_begin0
	;; [unrolled: 1-line block ×16, first 2 shown]
	.quad	0
	.quad	0
.Ldebug_ranges1:
	.quad	.Ltmp91-.Lfunc_begin0
	.quad	.Ltmp92-.Lfunc_begin0
	;; [unrolled: 1-line block ×14, first 2 shown]
	.quad	0
	.quad	0
.Ldebug_ranges2:
	.quad	.Ltmp4-.Lfunc_begin0
	.quad	.Ltmp5-.Lfunc_begin0
	;; [unrolled: 1-line block ×20, first 2 shown]
	.quad	0
	.quad	0
.Ldebug_ranges3:
	.quad	.Ltmp13-.Lfunc_begin0
	.quad	.Ltmp14-.Lfunc_begin0
	;; [unrolled: 1-line block ×60, first 2 shown]
	.quad	0
	.quad	0
.Ldebug_ranges4:
	.quad	.Ltmp78-.Lfunc_begin0
	.quad	.Ltmp86-.Lfunc_begin0
	;; [unrolled: 1-line block ×8, first 2 shown]
	.quad	0
	.quad	0
.Ldebug_ranges5:
	.quad	.Ltmp78-.Lfunc_begin0
	.quad	.Ltmp79-.Lfunc_begin0
	;; [unrolled: 1-line block ×10, first 2 shown]
	.quad	0
	.quad	0
	.section	.debug_str,"MS",@progbits,1
.Linfo_string0:
	.asciz	"triton"                        ; string offset=0
.Linfo_string1:
	.asciz	"sparsemax_aot.py"              ; string offset=7
.Linfo_string2:
	.asciz	"/root/src/amdgpu-assembly/repos/linkedin__Liger-Kernel/triton_aot_kernels" ; string offset=24
.Linfo_string3:
	.asciz	"_sparsemax_forward_kernel"     ; string offset=98
	.section	".note.GNU-stack","",@progbits
	.amdgpu_metadata
---
amdhsa.kernels:
  - .agpr_count:     0
    .args:
      - .address_space:  global
        .offset:         0
        .size:           8
        .value_kind:     global_buffer
      - .offset:         8
        .size:           4
        .value_kind:     by_value
      - .address_space:  global
        .offset:         16
        .size:           8
        .value_kind:     global_buffer
      - .offset:         24
        .size:           4
        .value_kind:     by_value
      - .address_space:  global
        .offset:         32
        .size:           8
        .value_kind:     global_buffer
      - .offset:         40
        .size:           4
        .value_kind:     by_value
      - .offset:         44
        .size:           4
        .value_kind:     by_value
      - .address_space:  global
        .offset:         48
        .size:           8
        .value_kind:     global_buffer
      - .address_space:  global
        .offset:         56
        .size:           8
        .value_kind:     global_buffer
    .group_segment_fixed_size: 0
    .kernarg_segment_align: 8
    .kernarg_segment_size: 64
    .max_flat_workgroup_size: 256
    .name:           _sparsemax_forward_kernel
    .private_segment_fixed_size: 0
    .sgpr_count:     32
    .sgpr_spill_count: 0
    .symbol:         _sparsemax_forward_kernel.kd
    .uniform_work_group_size: 1
    .uses_dynamic_stack: false
    .vgpr_count:     34
    .vgpr_spill_count: 0
    .wavefront_size: 64
amdhsa.target:   amdgcn-amd-amdhsa--gfx950
amdhsa.version:
  - 1
  - 2
...

	.end_amdgpu_metadata
	.section	.debug_line,"",@progbits
.Lline_table_start0:
